;; amdgpu-corpus repo=ROCm/rocFFT kind=compiled arch=gfx906 opt=O3
	.text
	.amdgcn_target "amdgcn-amd-amdhsa--gfx906"
	.amdhsa_code_object_version 6
	.protected	fft_rtc_fwd_len616_factors_11_7_8_wgs_88_tpt_88_half_ip_CI_sbrr_dirReg ; -- Begin function fft_rtc_fwd_len616_factors_11_7_8_wgs_88_tpt_88_half_ip_CI_sbrr_dirReg
	.globl	fft_rtc_fwd_len616_factors_11_7_8_wgs_88_tpt_88_half_ip_CI_sbrr_dirReg
	.p2align	8
	.type	fft_rtc_fwd_len616_factors_11_7_8_wgs_88_tpt_88_half_ip_CI_sbrr_dirReg,@function
fft_rtc_fwd_len616_factors_11_7_8_wgs_88_tpt_88_half_ip_CI_sbrr_dirReg: ; @fft_rtc_fwd_len616_factors_11_7_8_wgs_88_tpt_88_half_ip_CI_sbrr_dirReg
; %bb.0:
	s_load_dwordx2 s[2:3], s[4:5], 0x18
	s_load_dwordx4 s[8:11], s[4:5], 0x0
	s_load_dwordx2 s[14:15], s[4:5], 0x50
	v_mul_u32_u24_e32 v1, 0x2e9, v0
	v_add_u32_sdwa v5, s6, v1 dst_sel:DWORD dst_unused:UNUSED_PAD src0_sel:DWORD src1_sel:WORD_1
	s_waitcnt lgkmcnt(0)
	s_load_dwordx2 s[12:13], s[2:3], 0x0
	v_cmp_lt_u64_e64 s[0:1], s[10:11], 2
	v_mov_b32_e32 v3, 0
	v_mov_b32_e32 v1, 0
	;; [unrolled: 1-line block ×3, first 2 shown]
	s_and_b64 vcc, exec, s[0:1]
	v_mov_b32_e32 v2, 0
	s_cbranch_vccnz .LBB0_8
; %bb.1:
	s_load_dwordx2 s[0:1], s[4:5], 0x10
	s_add_u32 s6, s2, 8
	s_addc_u32 s7, s3, 0
	v_mov_b32_e32 v1, 0
	v_mov_b32_e32 v2, 0
	s_waitcnt lgkmcnt(0)
	s_add_u32 s16, s0, 8
	s_addc_u32 s17, s1, 0
	s_mov_b64 s[18:19], 1
.LBB0_2:                                ; =>This Inner Loop Header: Depth=1
	s_load_dwordx2 s[20:21], s[16:17], 0x0
                                        ; implicit-def: $vgpr7_vgpr8
	s_waitcnt lgkmcnt(0)
	v_or_b32_e32 v4, s21, v6
	v_cmp_ne_u64_e32 vcc, 0, v[3:4]
	s_and_saveexec_b64 s[0:1], vcc
	s_xor_b64 s[22:23], exec, s[0:1]
	s_cbranch_execz .LBB0_4
; %bb.3:                                ;   in Loop: Header=BB0_2 Depth=1
	v_cvt_f32_u32_e32 v4, s20
	v_cvt_f32_u32_e32 v7, s21
	s_sub_u32 s0, 0, s20
	s_subb_u32 s1, 0, s21
	v_mac_f32_e32 v4, 0x4f800000, v7
	v_rcp_f32_e32 v4, v4
	v_mul_f32_e32 v4, 0x5f7ffffc, v4
	v_mul_f32_e32 v7, 0x2f800000, v4
	v_trunc_f32_e32 v7, v7
	v_mac_f32_e32 v4, 0xcf800000, v7
	v_cvt_u32_f32_e32 v7, v7
	v_cvt_u32_f32_e32 v4, v4
	v_mul_lo_u32 v8, s0, v7
	v_mul_hi_u32 v9, s0, v4
	v_mul_lo_u32 v11, s1, v4
	v_mul_lo_u32 v10, s0, v4
	v_add_u32_e32 v8, v9, v8
	v_add_u32_e32 v8, v8, v11
	v_mul_hi_u32 v9, v4, v10
	v_mul_lo_u32 v11, v4, v8
	v_mul_hi_u32 v13, v4, v8
	v_mul_hi_u32 v12, v7, v10
	v_mul_lo_u32 v10, v7, v10
	v_mul_hi_u32 v14, v7, v8
	v_add_co_u32_e32 v9, vcc, v9, v11
	v_addc_co_u32_e32 v11, vcc, 0, v13, vcc
	v_mul_lo_u32 v8, v7, v8
	v_add_co_u32_e32 v9, vcc, v9, v10
	v_addc_co_u32_e32 v9, vcc, v11, v12, vcc
	v_addc_co_u32_e32 v10, vcc, 0, v14, vcc
	v_add_co_u32_e32 v8, vcc, v9, v8
	v_addc_co_u32_e32 v9, vcc, 0, v10, vcc
	v_add_co_u32_e32 v4, vcc, v4, v8
	v_addc_co_u32_e32 v7, vcc, v7, v9, vcc
	v_mul_lo_u32 v8, s0, v7
	v_mul_hi_u32 v9, s0, v4
	v_mul_lo_u32 v10, s1, v4
	v_mul_lo_u32 v11, s0, v4
	v_add_u32_e32 v8, v9, v8
	v_add_u32_e32 v8, v8, v10
	v_mul_lo_u32 v12, v4, v8
	v_mul_hi_u32 v13, v4, v11
	v_mul_hi_u32 v14, v4, v8
	;; [unrolled: 1-line block ×3, first 2 shown]
	v_mul_lo_u32 v11, v7, v11
	v_mul_hi_u32 v9, v7, v8
	v_add_co_u32_e32 v12, vcc, v13, v12
	v_addc_co_u32_e32 v13, vcc, 0, v14, vcc
	v_mul_lo_u32 v8, v7, v8
	v_add_co_u32_e32 v11, vcc, v12, v11
	v_addc_co_u32_e32 v10, vcc, v13, v10, vcc
	v_addc_co_u32_e32 v9, vcc, 0, v9, vcc
	v_add_co_u32_e32 v8, vcc, v10, v8
	v_addc_co_u32_e32 v9, vcc, 0, v9, vcc
	v_add_co_u32_e32 v4, vcc, v4, v8
	v_addc_co_u32_e32 v9, vcc, v7, v9, vcc
	v_mad_u64_u32 v[7:8], s[0:1], v5, v9, 0
	v_mul_hi_u32 v10, v5, v4
	v_add_co_u32_e32 v11, vcc, v10, v7
	v_addc_co_u32_e32 v12, vcc, 0, v8, vcc
	v_mad_u64_u32 v[7:8], s[0:1], v6, v4, 0
	v_mad_u64_u32 v[9:10], s[0:1], v6, v9, 0
	v_add_co_u32_e32 v4, vcc, v11, v7
	v_addc_co_u32_e32 v4, vcc, v12, v8, vcc
	v_addc_co_u32_e32 v7, vcc, 0, v10, vcc
	v_add_co_u32_e32 v4, vcc, v4, v9
	v_addc_co_u32_e32 v9, vcc, 0, v7, vcc
	v_mul_lo_u32 v10, s21, v4
	v_mul_lo_u32 v11, s20, v9
	v_mad_u64_u32 v[7:8], s[0:1], s20, v4, 0
	v_add3_u32 v8, v8, v11, v10
	v_sub_u32_e32 v10, v6, v8
	v_mov_b32_e32 v11, s21
	v_sub_co_u32_e32 v7, vcc, v5, v7
	v_subb_co_u32_e64 v10, s[0:1], v10, v11, vcc
	v_subrev_co_u32_e64 v11, s[0:1], s20, v7
	v_subbrev_co_u32_e64 v10, s[0:1], 0, v10, s[0:1]
	v_cmp_le_u32_e64 s[0:1], s21, v10
	v_cndmask_b32_e64 v12, 0, -1, s[0:1]
	v_cmp_le_u32_e64 s[0:1], s20, v11
	v_cndmask_b32_e64 v11, 0, -1, s[0:1]
	v_cmp_eq_u32_e64 s[0:1], s21, v10
	v_cndmask_b32_e64 v10, v12, v11, s[0:1]
	v_add_co_u32_e64 v11, s[0:1], 2, v4
	v_addc_co_u32_e64 v12, s[0:1], 0, v9, s[0:1]
	v_add_co_u32_e64 v13, s[0:1], 1, v4
	v_addc_co_u32_e64 v14, s[0:1], 0, v9, s[0:1]
	v_subb_co_u32_e32 v8, vcc, v6, v8, vcc
	v_cmp_ne_u32_e64 s[0:1], 0, v10
	v_cmp_le_u32_e32 vcc, s21, v8
	v_cndmask_b32_e64 v10, v14, v12, s[0:1]
	v_cndmask_b32_e64 v12, 0, -1, vcc
	v_cmp_le_u32_e32 vcc, s20, v7
	v_cndmask_b32_e64 v7, 0, -1, vcc
	v_cmp_eq_u32_e32 vcc, s21, v8
	v_cndmask_b32_e32 v7, v12, v7, vcc
	v_cmp_ne_u32_e32 vcc, 0, v7
	v_cndmask_b32_e64 v7, v13, v11, s[0:1]
	v_cndmask_b32_e32 v8, v9, v10, vcc
	v_cndmask_b32_e32 v7, v4, v7, vcc
.LBB0_4:                                ;   in Loop: Header=BB0_2 Depth=1
	s_andn2_saveexec_b64 s[0:1], s[22:23]
	s_cbranch_execz .LBB0_6
; %bb.5:                                ;   in Loop: Header=BB0_2 Depth=1
	v_cvt_f32_u32_e32 v4, s20
	s_sub_i32 s22, 0, s20
	v_rcp_iflag_f32_e32 v4, v4
	v_mul_f32_e32 v4, 0x4f7ffffe, v4
	v_cvt_u32_f32_e32 v4, v4
	v_mul_lo_u32 v7, s22, v4
	v_mul_hi_u32 v7, v4, v7
	v_add_u32_e32 v4, v4, v7
	v_mul_hi_u32 v4, v5, v4
	v_mul_lo_u32 v7, v4, s20
	v_add_u32_e32 v8, 1, v4
	v_sub_u32_e32 v7, v5, v7
	v_subrev_u32_e32 v9, s20, v7
	v_cmp_le_u32_e32 vcc, s20, v7
	v_cndmask_b32_e32 v7, v7, v9, vcc
	v_cndmask_b32_e32 v4, v4, v8, vcc
	v_add_u32_e32 v8, 1, v4
	v_cmp_le_u32_e32 vcc, s20, v7
	v_cndmask_b32_e32 v7, v4, v8, vcc
	v_mov_b32_e32 v8, v3
.LBB0_6:                                ;   in Loop: Header=BB0_2 Depth=1
	s_or_b64 exec, exec, s[0:1]
	v_mul_lo_u32 v4, v8, s20
	v_mul_lo_u32 v11, v7, s21
	v_mad_u64_u32 v[9:10], s[0:1], v7, s20, 0
	s_load_dwordx2 s[0:1], s[6:7], 0x0
	s_add_u32 s18, s18, 1
	v_add3_u32 v4, v10, v11, v4
	v_sub_co_u32_e32 v5, vcc, v5, v9
	v_subb_co_u32_e32 v4, vcc, v6, v4, vcc
	s_waitcnt lgkmcnt(0)
	v_mul_lo_u32 v4, s0, v4
	v_mul_lo_u32 v6, s1, v5
	v_mad_u64_u32 v[1:2], s[0:1], s0, v5, v[1:2]
	s_addc_u32 s19, s19, 0
	s_add_u32 s6, s6, 8
	v_add3_u32 v2, v6, v2, v4
	v_mov_b32_e32 v4, s10
	v_mov_b32_e32 v5, s11
	s_addc_u32 s7, s7, 0
	v_cmp_ge_u64_e32 vcc, s[18:19], v[4:5]
	s_add_u32 s16, s16, 8
	s_addc_u32 s17, s17, 0
	s_cbranch_vccnz .LBB0_9
; %bb.7:                                ;   in Loop: Header=BB0_2 Depth=1
	v_mov_b32_e32 v5, v7
	v_mov_b32_e32 v6, v8
	s_branch .LBB0_2
.LBB0_8:
	v_mov_b32_e32 v8, v6
	v_mov_b32_e32 v7, v5
.LBB0_9:
	s_lshl_b64 s[0:1], s[10:11], 3
	s_add_u32 s0, s2, s0
	s_addc_u32 s1, s3, s1
	s_load_dwordx2 s[2:3], s[0:1], 0x0
	s_load_dwordx2 s[6:7], s[4:5], 0x20
	v_mov_b32_e32 v16, 0
                                        ; implicit-def: $vgpr17
                                        ; implicit-def: $vgpr18
                                        ; implicit-def: $vgpr19
                                        ; implicit-def: $vgpr6
                                        ; implicit-def: $vgpr20
                                        ; implicit-def: $vgpr21
                                        ; implicit-def: $vgpr22
                                        ; implicit-def: $vgpr9
                                        ; implicit-def: $vgpr23
                                        ; implicit-def: $vgpr12
                                        ; implicit-def: $vgpr24
                                        ; implicit-def: $vgpr13
                                        ; implicit-def: $vgpr25
                                        ; implicit-def: $vgpr14
                                        ; implicit-def: $vgpr26
                                        ; implicit-def: $vgpr15
	s_waitcnt lgkmcnt(0)
	v_mad_u64_u32 v[1:2], s[0:1], s2, v7, v[1:2]
	s_mov_b32 s0, 0x2e8ba2f
	v_mul_lo_u32 v3, s2, v8
	v_mul_lo_u32 v4, s3, v7
	v_mul_hi_u32 v5, v0, s0
	v_cmp_gt_u64_e32 vcc, s[6:7], v[7:8]
                                        ; implicit-def: $vgpr7
                                        ; implicit-def: $vgpr8
	v_add3_u32 v2, v4, v2, v3
	v_mul_u32_u24_e32 v3, 0x58, v5
	v_sub_u32_e32 v10, v0, v3
	v_cmp_gt_u32_e64 s[0:1], 56, v10
	v_lshlrev_b64 v[0:1], 2, v[1:2]
	s_and_b64 s[2:3], vcc, s[0:1]
	v_mov_b32_e32 v2, 0
                                        ; implicit-def: $vgpr4
                                        ; implicit-def: $vgpr5
	s_and_saveexec_b64 s[4:5], s[2:3]
	s_cbranch_execz .LBB0_11
; %bb.10:
	v_mad_u64_u32 v[2:3], s[2:3], s12, v10, 0
	v_add_u32_e32 v7, 56, v10
	v_mov_b32_e32 v6, s15
	v_mad_u64_u32 v[3:4], s[2:3], s13, v10, v[3:4]
	v_mad_u64_u32 v[4:5], s[2:3], s12, v7, 0
	v_add_co_u32_e64 v11, s[2:3], s14, v0
	v_addc_co_u32_e64 v33, s[2:3], v6, v1, s[2:3]
	v_mad_u64_u32 v[5:6], s[2:3], s13, v7, v[5:6]
	v_add_u32_e32 v8, 0x70, v10
	v_mad_u64_u32 v[6:7], s[2:3], s12, v8, 0
	v_lshlrev_b64 v[2:3], 2, v[2:3]
	v_add_u32_e32 v34, 0x1f8, v10
	v_add_co_u32_e64 v13, s[2:3], v11, v2
	v_addc_co_u32_e64 v14, s[2:3], v33, v3, s[2:3]
	v_lshlrev_b64 v[2:3], 2, v[4:5]
	v_mov_b32_e32 v4, v7
	v_mad_u64_u32 v[4:5], s[2:3], s13, v8, v[4:5]
	v_add_u32_e32 v5, 0xa8, v10
	v_mad_u64_u32 v[8:9], s[2:3], s12, v5, 0
	v_add_co_u32_e64 v15, s[2:3], v11, v2
	v_mov_b32_e32 v7, v4
	v_mov_b32_e32 v4, v9
	v_addc_co_u32_e64 v16, s[2:3], v33, v3, s[2:3]
	v_lshlrev_b64 v[2:3], 2, v[6:7]
	v_mad_u64_u32 v[4:5], s[2:3], s13, v5, v[4:5]
	v_add_u32_e32 v7, 0xe0, v10
	v_mad_u64_u32 v[5:6], s[2:3], s12, v7, 0
	v_add_co_u32_e64 v17, s[2:3], v11, v2
	v_mov_b32_e32 v9, v4
	v_mov_b32_e32 v4, v6
	v_addc_co_u32_e64 v18, s[2:3], v33, v3, s[2:3]
	v_lshlrev_b64 v[2:3], 2, v[8:9]
	v_mad_u64_u32 v[6:7], s[2:3], s13, v7, v[4:5]
	v_add_u32_e32 v9, 0x118, v10
	v_mad_u64_u32 v[7:8], s[2:3], s12, v9, 0
	v_add_co_u32_e64 v19, s[2:3], v11, v2
	v_mov_b32_e32 v4, v8
	v_addc_co_u32_e64 v20, s[2:3], v33, v3, s[2:3]
	v_lshlrev_b64 v[2:3], 2, v[5:6]
	v_mad_u64_u32 v[4:5], s[2:3], s13, v9, v[4:5]
	v_add_u32_e32 v9, 0x150, v10
	v_mad_u64_u32 v[5:6], s[2:3], s12, v9, 0
	v_add_co_u32_e64 v21, s[2:3], v11, v2
	v_mov_b32_e32 v8, v4
	v_mov_b32_e32 v4, v6
	v_addc_co_u32_e64 v22, s[2:3], v33, v3, s[2:3]
	v_lshlrev_b64 v[2:3], 2, v[7:8]
	v_mad_u64_u32 v[6:7], s[2:3], s13, v9, v[4:5]
	v_add_u32_e32 v9, 0x188, v10
	v_mad_u64_u32 v[7:8], s[2:3], s12, v9, 0
	v_add_co_u32_e64 v23, s[2:3], v11, v2
	v_mov_b32_e32 v4, v8
	v_addc_co_u32_e64 v24, s[2:3], v33, v3, s[2:3]
	v_lshlrev_b64 v[2:3], 2, v[5:6]
	v_mad_u64_u32 v[4:5], s[2:3], s13, v9, v[4:5]
	v_add_co_u32_e64 v25, s[2:3], v11, v2
	v_mov_b32_e32 v8, v4
	v_or_b32_e32 v4, 0x1c0, v10
	v_addc_co_u32_e64 v26, s[2:3], v33, v3, s[2:3]
	v_mad_u64_u32 v[27:28], s[2:3], s12, v4, 0
	v_lshlrev_b64 v[2:3], 2, v[7:8]
	v_add_co_u32_e64 v29, s[2:3], v11, v2
	v_mov_b32_e32 v2, v28
	v_addc_co_u32_e64 v30, s[2:3], v33, v3, s[2:3]
	v_mad_u64_u32 v[3:4], s[2:3], s13, v4, v[2:3]
	global_load_dword v2, v[13:14], off
	global_load_dword v4, v[15:16], off
	;; [unrolled: 1-line block ×8, first 2 shown]
	v_mad_u64_u32 v[31:32], s[2:3], s12, v34, 0
	v_mov_b32_e32 v28, v3
	v_add_u32_e32 v20, 0x230, v10
	v_mov_b32_e32 v3, v32
	v_lshlrev_b64 v[13:14], 2, v[27:28]
	s_waitcnt vmcnt(6)
	v_mad_u64_u32 v[15:16], s[2:3], s13, v34, v[3:4]
	v_mad_u64_u32 v[16:17], s[2:3], s12, v20, 0
	v_add_co_u32_e64 v18, s[2:3], v11, v13
	v_mov_b32_e32 v3, v17
	v_addc_co_u32_e64 v19, s[2:3], v33, v14, s[2:3]
	v_mad_u64_u32 v[20:21], s[2:3], s13, v20, v[3:4]
	v_mov_b32_e32 v32, v15
	v_lshlrev_b64 v[13:14], 2, v[31:32]
	v_mov_b32_e32 v17, v20
	v_add_co_u32_e64 v21, s[2:3], v11, v13
	v_addc_co_u32_e64 v22, s[2:3], v33, v14, s[2:3]
	v_lshlrev_b64 v[13:14], 2, v[16:17]
	s_waitcnt vmcnt(3)
	v_lshrrev_b32_e32 v20, 16, v7
	v_add_co_u32_e64 v16, s[2:3], v11, v13
	v_addc_co_u32_e64 v17, s[2:3], v33, v14, s[2:3]
	global_load_dword v15, v[18:19], off
	global_load_dword v14, v[21:22], off
	;; [unrolled: 1-line block ×3, first 2 shown]
	v_lshrrev_b32_e32 v16, 16, v2
	v_lshrrev_b32_e32 v17, 16, v4
	;; [unrolled: 1-line block ×4, first 2 shown]
	s_waitcnt vmcnt(5)
	v_lshrrev_b32_e32 v21, 16, v8
	s_waitcnt vmcnt(4)
	v_lshrrev_b32_e32 v22, 16, v9
	;; [unrolled: 2-line block ×6, first 2 shown]
.LBB0_11:
	s_or_b64 exec, exec, s[4:5]
	v_add_f16_e32 v34, v4, v13
	v_sub_f16_e32 v27, v17, v24
	v_mul_f16_e32 v47, 0xb93d, v34
	s_mov_b32 s4, 0xba0c
	v_add_f16_e32 v36, v5, v14
	v_fma_f16 v3, v27, s4, v47
	v_sub_f16_e32 v28, v18, v25
	s_movk_i32 s6, 0x3beb
	v_mul_f16_e32 v48, 0xb08e, v36
	v_sub_f16_e32 v40, v4, v13
	v_add_f16_e32 v3, v2, v3
	v_fma_f16 v11, v28, s6, v48
	s_mov_b32 s5, 0xb93d
	v_add_f16_e32 v29, v17, v24
	v_mul_f16_e32 v50, 0xba0c, v40
	v_sub_f16_e32 v41, v5, v14
	v_add_f16_e32 v3, v3, v11
	v_fma_f16 v11, v29, s5, -v50
	s_mov_b32 s7, 0xb08e
	v_add_f16_e32 v30, v18, v25
	v_mul_f16_e32 v51, 0x3beb, v41
	v_add_f16_e32 v11, v16, v11
	v_fma_f16 v31, v30, s7, -v51
	v_add_f16_e32 v39, v6, v15
	v_add_f16_e32 v11, v11, v31
	s_mov_b32 s10, 0xb853
	v_sub_f16_e32 v31, v19, v26
	v_mul_f16_e32 v49, 0x3abb, v39
	v_fma_f16 v32, v31, s10, v49
	v_sub_f16_e32 v43, v6, v15
	v_add_f16_e32 v3, v3, v32
	s_movk_i32 s16, 0x3abb
	v_add_f16_e32 v32, v19, v26
	v_mul_f16_e32 v53, 0xb853, v43
	v_fma_f16 v33, v32, s16, -v53
	v_add_f16_e32 v42, v7, v12
	v_add_f16_e32 v11, v11, v33
	s_mov_b32 s11, 0xb482
	v_sub_f16_e32 v33, v20, v23
	v_mul_f16_e32 v52, 0xbbad, v42
	v_fma_f16 v35, v33, s11, v52
	v_sub_f16_e32 v44, v7, v12
	v_add_f16_e32 v3, v35, v3
	s_mov_b32 s17, 0xbbad
	v_add_f16_e32 v35, v20, v23
	v_mul_f16_e32 v55, 0xb482, v44
	v_fma_f16 v37, v35, s17, -v55
	v_sub_f16_e32 v46, v8, v9
	v_add_f16_e32 v11, v37, v11
	s_movk_i32 s18, 0x36a6
	v_add_f16_e32 v37, v21, v22
	v_mul_f16_e32 v56, 0x3b47, v46
	v_fma_f16 v38, v37, s18, -v56
	v_add_f16_e32 v45, v8, v9
	v_add_f16_e32 v11, v38, v11
	s_movk_i32 s19, 0x3b47
	v_sub_f16_e32 v38, v21, v22
	v_mul_f16_e32 v54, 0x36a6, v45
	v_fma_f16 v57, v38, s19, v54
	v_add_f16_e32 v3, v57, v3
	s_and_saveexec_b64 s[2:3], s[0:1]
	s_cbranch_execz .LBB0_13
; %bb.12:
	v_mul_f16_e32 v57, 0xb482, v40
	v_fma_f16 v58, v29, s17, -v57
	v_mul_f16_e32 v59, 0x3853, v41
	v_add_f16_e32 v58, v16, v58
	v_fma_f16 v60, v30, s16, -v59
	v_add_f16_e32 v58, v58, v60
	v_mul_f16_e32 v60, 0xba0c, v43
	v_fma_f16 v61, v32, s5, -v60
	v_add_f16_e32 v58, v58, v61
	v_mul_f16_e32 v61, 0x3b47, v44
	;; [unrolled: 3-line block ×3, first 2 shown]
	v_fma_f16 v63, v37, s7, -v62
	v_fma_f16 v57, v29, s17, v57
	v_add_f16_e32 v58, v63, v58
	v_mul_f16_e32 v63, 0xb482, v27
	v_add_f16_e32 v57, v16, v57
	v_fma_f16 v59, v30, s16, v59
	v_fma_f16 v64, v34, s17, v63
	v_mul_f16_e32 v65, 0x3853, v28
	v_add_f16_e32 v57, v57, v59
	v_fma_f16 v59, v32, s5, v60
	v_add_f16_e32 v64, v2, v64
	v_fma_f16 v66, v36, s16, v65
	;; [unrolled: 2-line block ×3, first 2 shown]
	v_add_f16_e32 v64, v64, v66
	v_mul_f16_e32 v66, 0xba0c, v31
	v_add_f16_e32 v57, v59, v57
	v_fma_f16 v59, v37, s7, v62
	v_fma_f16 v67, v39, s5, v66
	v_add_f16_e32 v57, v59, v57
	v_fma_f16 v59, v34, s17, -v63
	v_add_f16_e32 v64, v64, v67
	v_mul_f16_e32 v67, 0x3b47, v33
	v_add_f16_e32 v59, v2, v59
	v_fma_f16 v60, v36, s16, -v65
	v_fma_f16 v68, v42, s18, v67
	v_add_f16_e32 v59, v59, v60
	v_fma_f16 v60, v39, s5, -v66
	v_add_f16_e32 v64, v68, v64
	v_mul_f16_e32 v68, 0xbbeb, v38
	v_add_f16_e32 v59, v59, v60
	v_fma_f16 v60, v42, s18, -v67
	v_add_f16_e32 v59, v60, v59
	v_fma_f16 v60, v45, s7, -v68
	v_add_f16_e32 v59, v60, v59
	v_mul_f16_e32 v60, 0xb93d, v29
	v_add_f16_e32 v50, v60, v50
	v_mul_f16_e32 v60, 0xb08e, v30
	v_add_f16_e32 v51, v60, v51
	v_add_f16_e32 v50, v16, v50
	;; [unrolled: 1-line block ×3, first 2 shown]
	v_mul_f16_e32 v51, 0x3abb, v32
	v_add_f16_e32 v51, v51, v53
	v_add_f16_e32 v50, v50, v51
	v_mul_f16_e32 v51, 0xbbad, v35
	v_add_f16_e32 v51, v51, v55
	v_add_f16_e32 v50, v51, v50
	;; [unrolled: 3-line block ×3, first 2 shown]
	v_mul_f16_e32 v51, 0xba0c, v27
	v_sub_f16_e32 v47, v47, v51
	v_mul_f16_e32 v51, 0x3beb, v28
	v_sub_f16_e32 v48, v48, v51
	v_add_f16_e32 v47, v2, v47
	v_add_f16_e32 v47, v47, v48
	v_mul_f16_e32 v48, 0xb853, v31
	v_sub_f16_e32 v48, v49, v48
	v_add_f16_e32 v47, v47, v48
	v_mul_f16_e32 v48, 0xb482, v33
	v_sub_f16_e32 v48, v52, v48
	;; [unrolled: 3-line block ×3, first 2 shown]
	v_add_f16_e32 v47, v48, v47
	v_mul_f16_e32 v48, 0xbbeb, v40
	v_fma_f16 v49, v29, s7, v48
	v_mul_f16_e32 v51, 0x3482, v41
	v_add_f16_e32 v49, v16, v49
	v_fma_f16 v52, v30, s17, v51
	v_add_f16_e32 v49, v49, v52
	v_mul_f16_e32 v52, 0x3b47, v43
	v_fma_f16 v53, v32, s18, v52
	v_add_f16_e32 v49, v49, v53
	v_mul_f16_e32 v53, 0xb853, v44
	;; [unrolled: 3-line block ×4, first 2 shown]
	v_fma_f16 v56, v27, s6, v55
	v_mul_f16_e32 v60, 0xbbad, v36
	v_add_f16_e32 v56, v2, v56
	v_fma_f16 v61, v28, s11, v60
	v_add_f16_e32 v56, v56, v61
	s_mov_b32 s0, 0xbb47
	v_mul_f16_e32 v61, 0x36a6, v39
	v_fma_f16 v62, v31, s0, v61
	v_add_f16_e32 v56, v56, v62
	s_movk_i32 s1, 0x3853
	v_mul_f16_e32 v62, 0x3abb, v42
	v_fma_f16 v63, v33, s1, v62
	v_add_f16_e32 v56, v63, v56
	s_movk_i32 s20, 0x3a0c
	v_mul_f16_e32 v63, 0xb93d, v45
	v_fma_f16 v65, v38, s20, v63
	v_add_f16_e32 v56, v65, v56
	v_mul_f16_e32 v65, 0xbb47, v40
	v_fma_f16 v66, v29, s18, v65
	v_mul_f16_e32 v67, 0xba0c, v41
	v_fma_f16 v69, v45, s7, v68
	v_add_f16_e32 v66, v16, v66
	v_fma_f16 v68, v30, s5, v67
	v_add_f16_e32 v66, v66, v68
	v_mul_f16_e32 v68, 0x3482, v43
	v_add_f16_e32 v64, v69, v64
	v_fma_f16 v69, v32, s17, v68
	v_add_f16_e32 v66, v66, v69
	v_mul_f16_e32 v69, 0x3beb, v44
	v_fma_f16 v70, v35, s7, v69
	v_add_f16_e32 v66, v70, v66
	v_mul_f16_e32 v70, 0x3853, v46
	;; [unrolled: 3-line block ×3, first 2 shown]
	v_fma_f16 v72, v27, s19, v71
	v_mul_f16_e32 v73, 0xb93d, v36
	v_add_f16_e32 v72, v2, v72
	v_fma_f16 v74, v28, s20, v73
	v_add_f16_e32 v72, v72, v74
	v_mul_f16_e32 v74, 0xbbad, v39
	v_fma_f16 v75, v31, s11, v74
	v_add_f16_e32 v72, v72, v75
	s_mov_b32 s21, 0xbbeb
	v_mul_f16_e32 v75, 0xb08e, v42
	v_fma_f16 v76, v33, s21, v75
	v_add_f16_e32 v72, v76, v72
	v_mul_f16_e32 v76, 0x3abb, v45
	v_fma_f16 v77, v38, s10, v76
	v_mul_f16_e32 v40, 0xb853, v40
	v_add_f16_e32 v72, v77, v72
	v_fma_f16 v77, v29, s16, v40
	v_mul_f16_e32 v41, 0xbb47, v41
	v_add_f16_e32 v77, v16, v77
	;; [unrolled: 3-line block ×4, first 2 shown]
	v_fma_f16 v78, v35, s5, v44
	v_mul_f16_e32 v46, 0xb482, v46
	v_fma_f16 v48, v29, s7, -v48
	v_add_f16_e32 v77, v78, v77
	v_fma_f16 v78, v37, s17, v46
	v_mul_f16_e32 v34, 0x3abb, v34
	v_add_f16_e32 v48, v16, v48
	v_fma_f16 v51, v30, s17, -v51
	v_add_f16_e32 v77, v78, v77
	v_fma_f16 v78, v27, s1, v34
	v_mul_f16_e32 v36, 0x36a6, v36
	v_add_f16_e32 v48, v48, v51
	;; [unrolled: 5-line block ×4, first 2 shown]
	v_fma_f16 v51, v37, s5, -v54
	v_add_f16_e32 v78, v78, v79
	v_fma_f16 v79, v33, s20, v42
	s_movk_i32 s20, 0x3482
	v_add_f16_e32 v48, v51, v48
	v_fma_f16 v51, v27, s21, v55
	v_add_f16_e32 v51, v2, v51
	v_fma_f16 v52, v28, s20, v60
	;; [unrolled: 2-line block ×5, first 2 shown]
	v_add_f16_e32 v51, v52, v51
	v_fma_f16 v52, v29, s18, -v65
	v_add_f16_e32 v52, v16, v52
	v_fma_f16 v53, v30, s5, -v67
	;; [unrolled: 2-line block ×5, first 2 shown]
	v_add_f16_e32 v52, v53, v52
	v_fma_f16 v53, v27, s0, v71
	v_fma_f16 v29, v29, s16, -v40
	v_fma_f16 v27, v27, s10, v34
	v_add_f16_e32 v53, v2, v53
	v_add_f16_e32 v29, v16, v29
	;; [unrolled: 1-line block ×19, first 2 shown]
	v_mul_f16_e32 v45, 0xbbad, v45
	v_add_f16_e32 v16, v25, v16
	v_add_f16_e32 v2, v14, v2
	;; [unrolled: 1-line block ×3, first 2 shown]
	v_fma_f16 v79, v38, s20, v45
	v_add_f16_sdwa v16, v24, v16 dst_sel:WORD_1 dst_unused:UNUSED_PAD src0_sel:DWORD src1_sel:DWORD
	v_add_f16_e32 v2, v13, v2
	v_add_f16_e32 v78, v79, v78
	v_fma_f16 v54, v28, s4, v73
	v_fma_f16 v30, v30, s18, -v41
	v_fma_f16 v28, v28, s0, v36
	v_or_b32_e32 v2, v16, v2
	v_mad_u32_u24 v4, v10, 44, 0
	v_add_f16_e32 v53, v53, v54
	v_fma_f16 v54, v31, s20, v74
	v_add_f16_e32 v29, v29, v30
	v_fma_f16 v30, v32, s7, -v43
	v_add_f16_e32 v27, v27, v28
	v_fma_f16 v28, v31, s21, v39
	ds_write_b32 v4, v2
	v_pack_b32_f16 v2, v72, v66
	v_pack_b32_f16 v5, v78, v77
	v_add_f16_e32 v53, v53, v54
	v_fma_f16 v54, v33, s6, v75
	v_add_f16_e32 v29, v29, v30
	v_fma_f16 v30, v35, s5, -v44
	v_add_f16_e32 v27, v27, v28
	v_fma_f16 v28, v33, s4, v42
	ds_write2_b32 v4, v5, v2 offset0:1 offset1:2
	v_pack_b32_f16 v2, v47, v50
	v_pack_b32_f16 v5, v56, v49
	v_add_f16_e32 v53, v54, v53
	v_fma_f16 v54, v38, s1, v76
	v_add_f16_e32 v29, v30, v29
	v_fma_f16 v30, v37, s17, -v46
	v_add_f16_e32 v27, v28, v27
	v_fma_f16 v28, v38, s11, v45
	ds_write2_b32 v4, v5, v2 offset0:3 offset1:4
	v_pack_b32_f16 v2, v64, v58
	v_pack_b32_f16 v5, v59, v57
	s_mov_b32 s0, 0x5040100
	v_add_f16_e32 v53, v54, v53
	v_add_f16_e32 v29, v30, v29
	;; [unrolled: 1-line block ×3, first 2 shown]
	ds_write2_b32 v4, v5, v2 offset0:5 offset1:6
	v_pack_b32_f16 v2, v51, v48
	v_perm_b32 v5, v11, v3, s0
	ds_write2_b32 v4, v5, v2 offset0:7 offset1:8
	v_pack_b32_f16 v2, v27, v29
	v_pack_b32_f16 v5, v53, v52
	ds_write2_b32 v4, v5, v2 offset0:9 offset1:10
.LBB0_13:
	s_or_b64 exec, exec, s[2:3]
	s_movk_i32 s0, 0x75
	v_mul_lo_u16_sdwa v2, v10, s0 dst_sel:DWORD dst_unused:UNUSED_PAD src0_sel:BYTE_0 src1_sel:DWORD
	v_sub_u16_sdwa v4, v10, v2 dst_sel:DWORD dst_unused:UNUSED_PAD src0_sel:DWORD src1_sel:BYTE_1
	v_lshrrev_b16_e32 v4, 1, v4
	v_and_b32_e32 v4, 0x7f, v4
	v_add_u16_sdwa v2, v4, v2 dst_sel:DWORD dst_unused:UNUSED_PAD src0_sel:DWORD src1_sel:BYTE_1
	v_lshrrev_b16_e32 v21, 3, v2
	v_mul_lo_u16_e32 v2, 11, v21
	v_sub_u16_e32 v22, v10, v2
	v_mov_b32_e32 v2, 6
	v_mul_u32_u24_sdwa v2, v22, v2 dst_sel:DWORD dst_unused:UNUSED_PAD src0_sel:BYTE_0 src1_sel:DWORD
	v_lshlrev_b32_e32 v2, 2, v2
	s_waitcnt lgkmcnt(0)
	s_barrier
	global_load_dwordx4 v[4:7], v2, s[8:9]
	global_load_dwordx2 v[8:9], v2, s[8:9] offset:16
	v_lshl_add_u32 v15, v10, 2, 0
	v_add_u32_e32 v20, 0x400, v15
	ds_read2_b32 v[12:13], v15 offset1:88
	v_add_u32_e32 v2, 0x200, v15
	ds_read_b32 v14, v15 offset:2112
	ds_read2_b32 v[16:17], v2 offset0:48 offset1:136
	ds_read2_b32 v[18:19], v20 offset0:96 offset1:184
	s_movk_i32 s0, 0x2b26
	s_waitcnt lgkmcnt(3)
	v_lshrrev_b32_e32 v2, 16, v13
	s_waitcnt lgkmcnt(2)
	v_lshrrev_b32_e32 v23, 16, v14
	;; [unrolled: 2-line block ×3, first 2 shown]
	v_lshrrev_b32_e32 v25, 16, v17
	s_waitcnt lgkmcnt(0)
	v_lshrrev_b32_e32 v26, 16, v18
	v_lshrrev_b32_e32 v27, 16, v19
	s_movk_i32 s1, 0x3b00
	s_mov_b32 s2, 0xbcab
	v_mul_u32_u24_e32 v21, 0x134, v21
	s_waitcnt vmcnt(0)
	s_barrier
	v_mul_f16_sdwa v28, v4, v2 dst_sel:DWORD dst_unused:UNUSED_PAD src0_sel:WORD_1 src1_sel:DWORD
	v_mul_f16_sdwa v29, v4, v13 dst_sel:DWORD dst_unused:UNUSED_PAD src0_sel:WORD_1 src1_sel:DWORD
	;; [unrolled: 1-line block ×12, first 2 shown]
	v_fma_f16 v13, v4, v13, -v28
	v_fma_f16 v2, v4, v2, v29
	v_fma_f16 v4, v5, v16, -v30
	v_fma_f16 v5, v5, v24, v31
	;; [unrolled: 2-line block ×6, first 2 shown]
	v_add_f16_e32 v19, v13, v14
	v_add_f16_e32 v23, v2, v9
	v_sub_f16_e32 v13, v13, v14
	v_sub_f16_e32 v2, v2, v9
	v_add_f16_e32 v9, v4, v18
	v_add_f16_e32 v14, v5, v8
	v_sub_f16_e32 v4, v4, v18
	v_sub_f16_e32 v5, v5, v8
	;; [unrolled: 4-line block ×4, first 2 shown]
	v_sub_f16_e32 v19, v19, v8
	v_sub_f16_e32 v23, v23, v18
	;; [unrolled: 1-line block ×4, first 2 shown]
	v_add_f16_e32 v7, v8, v7
	v_add_f16_e32 v8, v18, v17
	v_mul_f16_e32 v17, 0x3a52, v19
	v_mul_f16_e32 v18, 0x3a52, v23
	;; [unrolled: 1-line block ×4, first 2 shown]
	v_fma_f16 v9, v9, s0, v17
	v_fma_f16 v14, v14, s0, v18
	s_movk_i32 s0, 0x39e0
	v_add_f16_e32 v26, v16, v4
	v_add_f16_e32 v27, v6, v5
	v_sub_f16_e32 v28, v16, v4
	v_sub_f16_e32 v29, v6, v5
	v_fma_f16 v19, v24, s0, -v19
	v_fma_f16 v23, v25, s0, -v23
	s_mov_b32 s0, 0xb9e0
	v_sub_f16_e32 v16, v13, v16
	v_sub_f16_e32 v6, v2, v6
	;; [unrolled: 1-line block ×4, first 2 shown]
	v_add_f16_e32 v13, v26, v13
	v_add_f16_e32 v2, v27, v2
	v_mul_f16_e32 v26, 0xb846, v28
	v_mul_f16_e32 v27, 0xb846, v29
	v_fma_f16 v17, v24, s0, -v17
	v_fma_f16 v18, v25, s0, -v18
	s_movk_i32 s0, 0x3574
	v_mul_f16_e32 v28, 0x3b00, v30
	v_add_f16_e32 v4, v7, v12
	v_add_f16_sdwa v12, v8, v12 dst_sel:DWORD dst_unused:UNUSED_PAD src0_sel:DWORD src1_sel:WORD_1
	v_mul_f16_e32 v29, 0x3b00, v5
	v_fma_f16 v24, v16, s0, v26
	v_fma_f16 v25, v6, s0, v27
	s_mov_b32 s0, 0xb574
	v_fma_f16 v7, v7, s2, v4
	v_fma_f16 v8, v8, s2, v12
	v_fma_f16 v5, v5, s1, -v27
	v_fma_f16 v16, v16, s0, -v28
	;; [unrolled: 1-line block ×3, first 2 shown]
	s_movk_i32 s0, 0x370e
	v_add_f16_e32 v27, v9, v7
	v_add_f16_e32 v28, v14, v8
	;; [unrolled: 1-line block ×6, first 2 shown]
	v_fma_f16 v25, v2, s0, v25
	v_fma_f16 v8, v2, s0, v5
	;; [unrolled: 1-line block ×3, first 2 shown]
	v_fma_f16 v26, v30, s1, -v26
	v_fma_f16 v24, v13, s0, v24
	v_add_f16_e32 v6, v2, v23
	v_sub_f16_e32 v7, v9, v8
	v_add_f16_e32 v8, v8, v9
	v_sub_f16_e32 v9, v23, v2
	v_mov_b32_e32 v23, 2
	v_fma_f16 v17, v13, s0, v26
	v_fma_f16 v26, v13, s0, v16
	v_add_f16_e32 v5, v25, v27
	v_sub_f16_e32 v14, v28, v24
	v_lshlrev_b32_sdwa v22, v23, v22 dst_sel:DWORD dst_unused:UNUSED_PAD src0_sel:DWORD src1_sel:BYTE_0
	v_sub_f16_e32 v13, v18, v26
	v_add_f16_e32 v16, v17, v19
	v_add3_u32 v21, 0, v21, v22
	v_pack_b32_f16 v22, v4, v12
	v_pack_b32_f16 v23, v5, v14
	v_sub_f16_e32 v17, v19, v17
	v_add_f16_e32 v19, v26, v18
	ds_write2_b32 v21, v22, v23 offset1:11
	v_pack_b32_f16 v22, v6, v13
	v_pack_b32_f16 v23, v7, v16
	v_sub_f16_e32 v2, v27, v25
	v_add_f16_e32 v18, v24, v28
	ds_write2_b32 v21, v22, v23 offset0:22 offset1:33
	v_pack_b32_f16 v22, v8, v17
	v_pack_b32_f16 v23, v9, v19
	s_movk_i32 s0, 0x4d
	ds_write2_b32 v21, v22, v23 offset0:44 offset1:55
	v_pack_b32_f16 v22, v2, v18
	v_cmp_gt_u32_e64 s[0:1], s0, v10
	ds_write_b32 v21, v22 offset:264
	s_waitcnt lgkmcnt(0)
	s_barrier
	s_and_saveexec_b64 s[2:3], s[0:1]
	s_cbranch_execnz .LBB0_16
; %bb.14:
	s_or_b64 exec, exec, s[2:3]
	s_and_b64 s[0:1], vcc, s[0:1]
	s_and_saveexec_b64 s[2:3], s[0:1]
	s_cbranch_execnz .LBB0_17
.LBB0_15:
	s_endpgm
.LBB0_16:
	v_add_u32_e32 v2, 0x600, v15
	ds_read2_b32 v[4:5], v15 offset1:77
	ds_read2_b32 v[6:7], v15 offset0:154 offset1:231
	ds_read2_b32 v[8:9], v20 offset0:52 offset1:129
	;; [unrolled: 1-line block ×3, first 2 shown]
	s_waitcnt lgkmcnt(3)
	v_lshrrev_b32_e32 v12, 16, v4
	v_lshrrev_b32_e32 v14, 16, v5
	s_waitcnt lgkmcnt(2)
	v_lshrrev_b32_e32 v13, 16, v6
	v_lshrrev_b32_e32 v16, 16, v7
	;; [unrolled: 3-line block ×4, first 2 shown]
	s_or_b64 exec, exec, s[2:3]
	s_and_b64 s[0:1], vcc, s[0:1]
	s_and_saveexec_b64 s[2:3], s[0:1]
	s_cbranch_execz .LBB0_15
.LBB0_17:
	v_mul_u32_u24_e32 v15, 7, v10
	v_lshlrev_b32_e32 v15, 2, v15
	global_load_dwordx4 v[20:23], v15, s[8:9] offset:264
	global_load_dwordx3 v[24:26], v15, s[8:9] offset:280
	v_mad_u64_u32 v[27:28], s[0:1], s12, v10, 0
	s_movk_i32 s0, 0x39a8
	s_mov_b32 s1, 0xb9a8
	v_mov_b32_e32 v15, v28
	s_waitcnt vmcnt(1)
	v_lshrrev_b32_e32 v28, 16, v21
	v_lshrrev_b32_e32 v29, 16, v22
	v_mul_f16_sdwa v30, v17, v23 dst_sel:DWORD dst_unused:UNUSED_PAD src0_sel:DWORD src1_sel:WORD_1
	v_mul_f16_e32 v31, v13, v21
	s_waitcnt vmcnt(0)
	v_lshrrev_b32_e32 v32, 16, v25
	v_lshrrev_b32_e32 v33, 16, v26
	v_mul_f16_e32 v34, v18, v25
	v_mul_f16_sdwa v35, v14, v20 dst_sel:DWORD dst_unused:UNUSED_PAD src0_sel:DWORD src1_sel:WORD_1
	v_mul_f16_sdwa v36, v19, v24 dst_sel:DWORD dst_unused:UNUSED_PAD src0_sel:DWORD src1_sel:WORD_1
	v_mul_f16_e32 v37, v16, v22
	v_mul_f16_e32 v38, v11, v26
	v_mul_f16_sdwa v39, v5, v20 dst_sel:DWORD dst_unused:UNUSED_PAD src0_sel:DWORD src1_sel:WORD_1
	v_mul_f16_sdwa v40, v9, v24 dst_sel:DWORD dst_unused:UNUSED_PAD src0_sel:DWORD src1_sel:WORD_1
	;; [unrolled: 1-line block ×3, first 2 shown]
	v_fma_f16 v8, v8, v23, -v30
	v_fma_f16 v30, v6, v28, v31
	v_fma_f16 v31, v2, v32, v34
	v_fma_f16 v5, v5, v20, -v35
	v_fma_f16 v9, v9, v24, -v36
	v_fma_f16 v34, v7, v29, v37
	v_fma_f16 v35, v3, v33, v38
	v_mul_f16_e32 v16, v16, v29
	v_mul_f16_e32 v11, v11, v33
	;; [unrolled: 1-line block ×4, first 2 shown]
	v_fma_f16 v14, v14, v20, v39
	v_fma_f16 v19, v19, v24, v40
	;; [unrolled: 1-line block ×3, first 2 shown]
	v_sub_f16_e32 v8, v4, v8
	v_sub_f16_e32 v20, v30, v31
	;; [unrolled: 1-line block ×4, first 2 shown]
	v_fma_f16 v7, v7, v22, -v16
	v_fma_f16 v3, v3, v26, -v11
	;; [unrolled: 1-line block ×4, first 2 shown]
	v_sub_f16_e32 v19, v14, v19
	v_sub_f16_e32 v11, v12, v17
	;; [unrolled: 1-line block ×6, first 2 shown]
	v_fma_f16 v4, v4, 2.0, -v8
	v_fma_f16 v14, v14, 2.0, -v19
	;; [unrolled: 1-line block ×6, first 2 shown]
	v_fma_f16 v20, v16, s0, v13
	v_add_f16_e32 v21, v19, v3
	v_add_f16_e32 v22, v11, v2
	v_fma_f16 v2, v6, 2.0, -v2
	v_fma_f16 v3, v7, 2.0, -v3
	;; [unrolled: 1-line block ×4, first 2 shown]
	v_sub_f16_e32 v6, v14, v17
	v_sub_f16_e32 v17, v12, v18
	v_fma_f16 v9, v21, s1, v20
	v_fma_f16 v18, v21, s0, v22
	v_sub_f16_e32 v2, v4, v2
	v_sub_f16_e32 v3, v5, v3
	v_fma_f16 v20, v8, s1, v7
	v_fma_f16 v19, v19, 2.0, -v21
	v_fma_f16 v11, v11, 2.0, -v22
	;; [unrolled: 1-line block ×3, first 2 shown]
	v_fma_f16 v16, v16, s0, v18
	v_sub_f16_e32 v6, v2, v6
	v_add_f16_e32 v18, v17, v3
	v_fma_f16 v20, v19, s1, v20
	v_fma_f16 v19, v19, s1, v11
	v_fma_f16 v4, v4, 2.0, -v2
	v_fma_f16 v3, v5, 2.0, -v3
	;; [unrolled: 1-line block ×3, first 2 shown]
	v_fma_f16 v7, v8, s0, v19
	v_sub_f16_e32 v8, v4, v3
	v_fma_f16 v19, v2, 2.0, -v6
	v_mad_u64_u32 v[2:3], s[0:1], s13, v10, v[15:16]
	v_fma_f16 v21, v22, 2.0, -v16
	v_add_u32_e32 v22, 0x4d, v10
	v_mov_b32_e32 v28, v2
	v_mad_u64_u32 v[2:3], s[0:1], s12, v22, 0
	v_fma_f16 v12, v12, 2.0, -v17
	v_fma_f16 v15, v17, 2.0, -v18
	;; [unrolled: 1-line block ×3, first 2 shown]
	v_mov_b32_e32 v4, s15
	v_add_co_u32_e32 v23, vcc, s14, v0
	v_addc_co_u32_e32 v24, vcc, v4, v1, vcc
	v_lshlrev_b64 v[0:1], 2, v[27:28]
	v_sub_f16_e32 v14, v12, v14
	v_mad_u64_u32 v[3:4], s[0:1], s13, v22, v[3:4]
	v_fma_f16 v12, v12, 2.0, -v14
	v_add_co_u32_e32 v0, vcc, v23, v0
	v_addc_co_u32_e32 v1, vcc, v24, v1, vcc
	v_pack_b32_f16 v4, v17, v12
	global_store_dword v[0:1], v4, off
	v_add_u32_e32 v4, 0x9a, v10
	v_lshlrev_b64 v[0:1], 2, v[2:3]
	v_mad_u64_u32 v[2:3], s[0:1], s12, v4, 0
	v_fma_f16 v11, v11, 2.0, -v7
	v_add_u32_e32 v12, 0xe7, v10
	v_mad_u64_u32 v[3:4], s[0:1], s13, v4, v[3:4]
	v_pack_b32_f16 v11, v5, v11
	v_mad_u64_u32 v[4:5], s[0:1], s12, v12, 0
	v_add_co_u32_e32 v0, vcc, v23, v0
	v_addc_co_u32_e32 v1, vcc, v24, v1, vcc
	global_store_dword v[0:1], v11, off
	v_lshlrev_b64 v[0:1], 2, v[2:3]
	v_mov_b32_e32 v2, v5
	v_mad_u64_u32 v[2:3], s[0:1], s13, v12, v[2:3]
	v_add_co_u32_e32 v0, vcc, v23, v0
	v_addc_co_u32_e32 v1, vcc, v24, v1, vcc
	v_pack_b32_f16 v3, v19, v15
	v_mov_b32_e32 v5, v2
	global_store_dword v[0:1], v3, off
	v_lshlrev_b64 v[0:1], 2, v[4:5]
	v_add_u32_e32 v4, 0x134, v10
	v_mad_u64_u32 v[2:3], s[0:1], s12, v4, 0
	v_add_u32_e32 v12, 0x181, v10
	v_fma_f16 v13, v13, 2.0, -v9
	v_mad_u64_u32 v[3:4], s[0:1], s13, v4, v[3:4]
	v_mad_u64_u32 v[4:5], s[0:1], s12, v12, 0
	v_add_co_u32_e32 v0, vcc, v23, v0
	v_addc_co_u32_e32 v1, vcc, v24, v1, vcc
	v_pack_b32_f16 v11, v13, v21
	global_store_dword v[0:1], v11, off
	v_lshlrev_b64 v[0:1], 2, v[2:3]
	v_mov_b32_e32 v2, v5
	v_mad_u64_u32 v[2:3], s[0:1], s13, v12, v[2:3]
	v_add_co_u32_e32 v0, vcc, v23, v0
	v_addc_co_u32_e32 v1, vcc, v24, v1, vcc
	v_pack_b32_f16 v3, v8, v14
	v_mov_b32_e32 v5, v2
	global_store_dword v[0:1], v3, off
	v_lshlrev_b64 v[0:1], 2, v[4:5]
	v_add_u32_e32 v4, 0x1ce, v10
	v_mad_u64_u32 v[2:3], s[0:1], s12, v4, 0
	v_add_u32_e32 v8, 0x21b, v10
	v_add_co_u32_e32 v0, vcc, v23, v0
	v_mad_u64_u32 v[3:4], s[0:1], s13, v4, v[3:4]
	v_mad_u64_u32 v[4:5], s[0:1], s12, v8, 0
	v_addc_co_u32_e32 v1, vcc, v24, v1, vcc
	v_pack_b32_f16 v7, v20, v7
	global_store_dword v[0:1], v7, off
	v_lshlrev_b64 v[0:1], 2, v[2:3]
	v_mov_b32_e32 v2, v5
	v_mad_u64_u32 v[2:3], s[0:1], s13, v8, v[2:3]
	v_add_co_u32_e32 v0, vcc, v23, v0
	v_addc_co_u32_e32 v1, vcc, v24, v1, vcc
	v_pack_b32_f16 v3, v6, v18
	v_mov_b32_e32 v5, v2
	global_store_dword v[0:1], v3, off
	v_lshlrev_b64 v[0:1], 2, v[4:5]
	v_pack_b32_f16 v2, v9, v16
	v_add_co_u32_e32 v0, vcc, v23, v0
	v_addc_co_u32_e32 v1, vcc, v24, v1, vcc
	global_store_dword v[0:1], v2, off
	s_endpgm
	.section	.rodata,"a",@progbits
	.p2align	6, 0x0
	.amdhsa_kernel fft_rtc_fwd_len616_factors_11_7_8_wgs_88_tpt_88_half_ip_CI_sbrr_dirReg
		.amdhsa_group_segment_fixed_size 0
		.amdhsa_private_segment_fixed_size 0
		.amdhsa_kernarg_size 88
		.amdhsa_user_sgpr_count 6
		.amdhsa_user_sgpr_private_segment_buffer 1
		.amdhsa_user_sgpr_dispatch_ptr 0
		.amdhsa_user_sgpr_queue_ptr 0
		.amdhsa_user_sgpr_kernarg_segment_ptr 1
		.amdhsa_user_sgpr_dispatch_id 0
		.amdhsa_user_sgpr_flat_scratch_init 0
		.amdhsa_user_sgpr_private_segment_size 0
		.amdhsa_uses_dynamic_stack 0
		.amdhsa_system_sgpr_private_segment_wavefront_offset 0
		.amdhsa_system_sgpr_workgroup_id_x 1
		.amdhsa_system_sgpr_workgroup_id_y 0
		.amdhsa_system_sgpr_workgroup_id_z 0
		.amdhsa_system_sgpr_workgroup_info 0
		.amdhsa_system_vgpr_workitem_id 0
		.amdhsa_next_free_vgpr 80
		.amdhsa_next_free_sgpr 24
		.amdhsa_reserve_vcc 1
		.amdhsa_reserve_flat_scratch 0
		.amdhsa_float_round_mode_32 0
		.amdhsa_float_round_mode_16_64 0
		.amdhsa_float_denorm_mode_32 3
		.amdhsa_float_denorm_mode_16_64 3
		.amdhsa_dx10_clamp 1
		.amdhsa_ieee_mode 1
		.amdhsa_fp16_overflow 0
		.amdhsa_exception_fp_ieee_invalid_op 0
		.amdhsa_exception_fp_denorm_src 0
		.amdhsa_exception_fp_ieee_div_zero 0
		.amdhsa_exception_fp_ieee_overflow 0
		.amdhsa_exception_fp_ieee_underflow 0
		.amdhsa_exception_fp_ieee_inexact 0
		.amdhsa_exception_int_div_zero 0
	.end_amdhsa_kernel
	.text
.Lfunc_end0:
	.size	fft_rtc_fwd_len616_factors_11_7_8_wgs_88_tpt_88_half_ip_CI_sbrr_dirReg, .Lfunc_end0-fft_rtc_fwd_len616_factors_11_7_8_wgs_88_tpt_88_half_ip_CI_sbrr_dirReg
                                        ; -- End function
	.section	.AMDGPU.csdata,"",@progbits
; Kernel info:
; codeLenInByte = 6188
; NumSgprs: 28
; NumVgprs: 80
; ScratchSize: 0
; MemoryBound: 0
; FloatMode: 240
; IeeeMode: 1
; LDSByteSize: 0 bytes/workgroup (compile time only)
; SGPRBlocks: 3
; VGPRBlocks: 19
; NumSGPRsForWavesPerEU: 28
; NumVGPRsForWavesPerEU: 80
; Occupancy: 3
; WaveLimiterHint : 1
; COMPUTE_PGM_RSRC2:SCRATCH_EN: 0
; COMPUTE_PGM_RSRC2:USER_SGPR: 6
; COMPUTE_PGM_RSRC2:TRAP_HANDLER: 0
; COMPUTE_PGM_RSRC2:TGID_X_EN: 1
; COMPUTE_PGM_RSRC2:TGID_Y_EN: 0
; COMPUTE_PGM_RSRC2:TGID_Z_EN: 0
; COMPUTE_PGM_RSRC2:TIDIG_COMP_CNT: 0
	.type	__hip_cuid_22152b9f980ccccf,@object ; @__hip_cuid_22152b9f980ccccf
	.section	.bss,"aw",@nobits
	.globl	__hip_cuid_22152b9f980ccccf
__hip_cuid_22152b9f980ccccf:
	.byte	0                               ; 0x0
	.size	__hip_cuid_22152b9f980ccccf, 1

	.ident	"AMD clang version 19.0.0git (https://github.com/RadeonOpenCompute/llvm-project roc-6.4.0 25133 c7fe45cf4b819c5991fe208aaa96edf142730f1d)"
	.section	".note.GNU-stack","",@progbits
	.addrsig
	.addrsig_sym __hip_cuid_22152b9f980ccccf
	.amdgpu_metadata
---
amdhsa.kernels:
  - .args:
      - .actual_access:  read_only
        .address_space:  global
        .offset:         0
        .size:           8
        .value_kind:     global_buffer
      - .offset:         8
        .size:           8
        .value_kind:     by_value
      - .actual_access:  read_only
        .address_space:  global
        .offset:         16
        .size:           8
        .value_kind:     global_buffer
      - .actual_access:  read_only
        .address_space:  global
        .offset:         24
        .size:           8
        .value_kind:     global_buffer
      - .offset:         32
        .size:           8
        .value_kind:     by_value
      - .actual_access:  read_only
        .address_space:  global
        .offset:         40
        .size:           8
        .value_kind:     global_buffer
      - .actual_access:  read_only
        .address_space:  global
        .offset:         48
        .size:           8
        .value_kind:     global_buffer
      - .offset:         56
        .size:           4
        .value_kind:     by_value
      - .actual_access:  read_only
        .address_space:  global
        .offset:         64
        .size:           8
        .value_kind:     global_buffer
      - .actual_access:  read_only
        .address_space:  global
        .offset:         72
        .size:           8
        .value_kind:     global_buffer
      - .address_space:  global
        .offset:         80
        .size:           8
        .value_kind:     global_buffer
    .group_segment_fixed_size: 0
    .kernarg_segment_align: 8
    .kernarg_segment_size: 88
    .language:       OpenCL C
    .language_version:
      - 2
      - 0
    .max_flat_workgroup_size: 88
    .name:           fft_rtc_fwd_len616_factors_11_7_8_wgs_88_tpt_88_half_ip_CI_sbrr_dirReg
    .private_segment_fixed_size: 0
    .sgpr_count:     28
    .sgpr_spill_count: 0
    .symbol:         fft_rtc_fwd_len616_factors_11_7_8_wgs_88_tpt_88_half_ip_CI_sbrr_dirReg.kd
    .uniform_work_group_size: 1
    .uses_dynamic_stack: false
    .vgpr_count:     80
    .vgpr_spill_count: 0
    .wavefront_size: 64
amdhsa.target:   amdgcn-amd-amdhsa--gfx906
amdhsa.version:
  - 1
  - 2
...

	.end_amdgpu_metadata
